;; amdgpu-corpus repo=ROCm/rocFFT kind=compiled arch=gfx950 opt=O3
	.text
	.amdgcn_target "amdgcn-amd-amdhsa--gfx950"
	.amdhsa_code_object_version 6
	.protected	fft_rtc_fwd_len240_factors_8_5_6_wgs_96_tpt_48_halfLds_dp_ip_CI_unitstride_sbrr_R2C_dirReg ; -- Begin function fft_rtc_fwd_len240_factors_8_5_6_wgs_96_tpt_48_halfLds_dp_ip_CI_unitstride_sbrr_R2C_dirReg
	.globl	fft_rtc_fwd_len240_factors_8_5_6_wgs_96_tpt_48_halfLds_dp_ip_CI_unitstride_sbrr_R2C_dirReg
	.p2align	8
	.type	fft_rtc_fwd_len240_factors_8_5_6_wgs_96_tpt_48_halfLds_dp_ip_CI_unitstride_sbrr_R2C_dirReg,@function
fft_rtc_fwd_len240_factors_8_5_6_wgs_96_tpt_48_halfLds_dp_ip_CI_unitstride_sbrr_R2C_dirReg: ; @fft_rtc_fwd_len240_factors_8_5_6_wgs_96_tpt_48_halfLds_dp_ip_CI_unitstride_sbrr_R2C_dirReg
; %bb.0:
	s_load_dwordx2 s[8:9], s[0:1], 0x50
	s_load_dwordx4 s[4:7], s[0:1], 0x0
	s_load_dwordx2 s[10:11], s[0:1], 0x18
	v_mul_u32_u24_e32 v1, 0x556, v0
	v_lshrrev_b32_e32 v1, 16, v1
	v_lshl_add_u32 v6, s2, 1, v1
	v_mov_b32_e32 v4, 0
	s_waitcnt lgkmcnt(0)
	v_cmp_lt_u64_e64 s[2:3], s[6:7], 2
	v_mov_b32_e32 v7, v4
	s_and_b64 vcc, exec, s[2:3]
	v_mov_b64_e32 v[2:3], 0
	s_cbranch_vccnz .LBB0_8
; %bb.1:
	s_load_dwordx2 s[2:3], s[0:1], 0x10
	s_add_u32 s12, s10, 8
	s_addc_u32 s13, s11, 0
	s_mov_b64 s[14:15], 1
	v_mov_b64_e32 v[2:3], 0
	s_waitcnt lgkmcnt(0)
	s_add_u32 s16, s2, 8
	s_addc_u32 s17, s3, 0
.LBB0_2:                                ; =>This Inner Loop Header: Depth=1
	s_load_dwordx2 s[18:19], s[16:17], 0x0
                                        ; implicit-def: $vgpr8_vgpr9
	s_waitcnt lgkmcnt(0)
	v_or_b32_e32 v5, s19, v7
	v_cmp_ne_u64_e32 vcc, 0, v[4:5]
	s_and_saveexec_b64 s[2:3], vcc
	s_xor_b64 s[20:21], exec, s[2:3]
	s_cbranch_execz .LBB0_4
; %bb.3:                                ;   in Loop: Header=BB0_2 Depth=1
	v_cvt_f32_u32_e32 v5, s18
	v_cvt_f32_u32_e32 v8, s19
	s_sub_u32 s2, 0, s18
	s_subb_u32 s3, 0, s19
	v_fmac_f32_e32 v5, 0x4f800000, v8
	v_rcp_f32_e32 v5, v5
	s_nop 0
	v_mul_f32_e32 v5, 0x5f7ffffc, v5
	v_mul_f32_e32 v8, 0x2f800000, v5
	v_trunc_f32_e32 v8, v8
	v_fmac_f32_e32 v5, 0xcf800000, v8
	v_cvt_u32_f32_e32 v12, v8
	v_cvt_u32_f32_e32 v5, v5
	v_mul_lo_u32 v8, s2, v12
	v_mul_hi_u32 v10, s2, v5
	v_mul_lo_u32 v9, s3, v5
	v_add_u32_e32 v10, v10, v8
	v_mul_lo_u32 v13, s2, v5
	v_add_u32_e32 v14, v10, v9
	v_mul_hi_u32 v8, v5, v13
	v_mul_hi_u32 v11, v5, v14
	v_mul_lo_u32 v10, v5, v14
	v_mov_b32_e32 v9, v4
	v_lshl_add_u64 v[8:9], v[8:9], 0, v[10:11]
	v_mul_hi_u32 v11, v12, v13
	v_mul_lo_u32 v13, v12, v13
	v_add_co_u32_e32 v8, vcc, v8, v13
	v_mul_hi_u32 v10, v12, v14
	s_nop 0
	v_addc_co_u32_e32 v8, vcc, v9, v11, vcc
	v_mov_b32_e32 v9, v4
	s_nop 0
	v_addc_co_u32_e32 v11, vcc, 0, v10, vcc
	v_mul_lo_u32 v10, v12, v14
	v_lshl_add_u64 v[8:9], v[8:9], 0, v[10:11]
	v_add_co_u32_e32 v5, vcc, v5, v8
	v_mul_lo_u32 v10, s2, v5
	s_nop 0
	v_addc_co_u32_e32 v12, vcc, v12, v9, vcc
	v_mul_lo_u32 v8, s2, v12
	v_mul_hi_u32 v9, s2, v5
	v_add_u32_e32 v8, v9, v8
	v_mul_lo_u32 v9, s3, v5
	v_add_u32_e32 v13, v8, v9
	v_mul_hi_u32 v15, v12, v10
	v_mul_lo_u32 v16, v12, v10
	v_mul_hi_u32 v9, v5, v13
	v_mul_lo_u32 v8, v5, v13
	v_mul_hi_u32 v10, v5, v10
	v_mov_b32_e32 v11, v4
	v_lshl_add_u64 v[8:9], v[10:11], 0, v[8:9]
	v_add_co_u32_e32 v8, vcc, v8, v16
	v_mul_hi_u32 v14, v12, v13
	s_nop 0
	v_addc_co_u32_e32 v8, vcc, v9, v15, vcc
	v_mul_lo_u32 v10, v12, v13
	s_nop 0
	v_addc_co_u32_e32 v11, vcc, 0, v14, vcc
	v_mov_b32_e32 v9, v4
	v_lshl_add_u64 v[8:9], v[8:9], 0, v[10:11]
	v_add_co_u32_e32 v5, vcc, v5, v8
	v_mul_hi_u32 v10, v6, v5
	s_nop 0
	v_addc_co_u32_e32 v12, vcc, v12, v9, vcc
	v_mad_u64_u32 v[8:9], s[2:3], v6, v12, 0
	v_mov_b32_e32 v11, v4
	v_lshl_add_u64 v[8:9], v[10:11], 0, v[8:9]
	v_mad_u64_u32 v[10:11], s[2:3], v7, v12, 0
	v_mad_u64_u32 v[12:13], s[2:3], v7, v5, 0
	v_add_co_u32_e32 v5, vcc, v8, v12
	s_nop 1
	v_addc_co_u32_e32 v8, vcc, v9, v13, vcc
	v_mov_b32_e32 v9, v4
	s_nop 0
	v_addc_co_u32_e32 v11, vcc, 0, v11, vcc
	v_lshl_add_u64 v[8:9], v[8:9], 0, v[10:11]
	v_mul_lo_u32 v5, s19, v8
	v_mul_lo_u32 v12, s18, v9
	v_mad_u64_u32 v[10:11], s[2:3], s18, v8, 0
	v_add3_u32 v5, v11, v12, v5
	v_sub_u32_e32 v11, v7, v5
	v_mov_b32_e32 v12, s19
	v_sub_co_u32_e32 v14, vcc, v6, v10
	s_nop 1
	v_subb_co_u32_e64 v10, s[2:3], v11, v12, vcc
	v_subrev_co_u32_e64 v11, s[2:3], s18, v14
	v_subb_co_u32_e32 v5, vcc, v7, v5, vcc
	s_nop 0
	v_subbrev_co_u32_e64 v10, s[2:3], 0, v10, s[2:3]
	v_cmp_le_u32_e64 s[2:3], s19, v10
	v_cmp_le_u32_e32 vcc, s19, v5
	s_nop 0
	v_cndmask_b32_e64 v12, 0, -1, s[2:3]
	v_cmp_le_u32_e64 s[2:3], s18, v11
	s_nop 1
	v_cndmask_b32_e64 v11, 0, -1, s[2:3]
	v_cmp_eq_u32_e64 s[2:3], s19, v10
	s_nop 1
	v_cndmask_b32_e64 v15, v12, v11, s[2:3]
	v_lshl_add_u64 v[10:11], v[8:9], 0, 2
	v_lshl_add_u64 v[12:13], v[8:9], 0, 1
	v_cmp_ne_u32_e64 s[2:3], 0, v15
	s_nop 1
	v_cndmask_b32_e64 v11, v13, v11, s[2:3]
	v_cndmask_b32_e64 v13, 0, -1, vcc
	v_cmp_le_u32_e32 vcc, s18, v14
	s_nop 1
	v_cndmask_b32_e64 v14, 0, -1, vcc
	v_cmp_eq_u32_e32 vcc, s19, v5
	s_nop 1
	v_cndmask_b32_e32 v5, v13, v14, vcc
	v_cmp_ne_u32_e32 vcc, 0, v5
	v_cndmask_b32_e64 v5, v12, v10, s[2:3]
	s_nop 0
	v_cndmask_b32_e32 v9, v9, v11, vcc
	v_cndmask_b32_e32 v8, v8, v5, vcc
.LBB0_4:                                ;   in Loop: Header=BB0_2 Depth=1
	s_andn2_saveexec_b64 s[2:3], s[20:21]
	s_cbranch_execz .LBB0_6
; %bb.5:                                ;   in Loop: Header=BB0_2 Depth=1
	v_cvt_f32_u32_e32 v5, s18
	s_sub_i32 s20, 0, s18
	v_rcp_iflag_f32_e32 v5, v5
	s_nop 0
	v_mul_f32_e32 v5, 0x4f7ffffe, v5
	v_cvt_u32_f32_e32 v5, v5
	v_mul_lo_u32 v8, s20, v5
	v_mul_hi_u32 v8, v5, v8
	v_add_u32_e32 v5, v5, v8
	v_mul_hi_u32 v5, v6, v5
	v_mul_lo_u32 v8, v5, s18
	v_sub_u32_e32 v8, v6, v8
	v_add_u32_e32 v9, 1, v5
	v_subrev_u32_e32 v10, s18, v8
	v_cmp_le_u32_e32 vcc, s18, v8
	s_nop 1
	v_cndmask_b32_e32 v8, v8, v10, vcc
	v_cndmask_b32_e32 v5, v5, v9, vcc
	v_add_u32_e32 v9, 1, v5
	v_cmp_le_u32_e32 vcc, s18, v8
	s_nop 1
	v_cndmask_b32_e32 v8, v5, v9, vcc
	v_mov_b32_e32 v9, v4
.LBB0_6:                                ;   in Loop: Header=BB0_2 Depth=1
	s_or_b64 exec, exec, s[2:3]
	v_mad_u64_u32 v[10:11], s[2:3], v8, s18, 0
	s_load_dwordx2 s[2:3], s[12:13], 0x0
	v_mul_lo_u32 v5, v9, s18
	v_mul_lo_u32 v12, v8, s19
	v_add3_u32 v5, v11, v12, v5
	v_sub_co_u32_e32 v6, vcc, v6, v10
	s_add_u32 s14, s14, 1
	s_nop 0
	v_subb_co_u32_e32 v5, vcc, v7, v5, vcc
	s_addc_u32 s15, s15, 0
	s_waitcnt lgkmcnt(0)
	v_mul_lo_u32 v5, s2, v5
	v_mul_lo_u32 v7, s3, v6
	v_mad_u64_u32 v[2:3], s[2:3], s2, v6, v[2:3]
	s_add_u32 s12, s12, 8
	v_add3_u32 v3, v7, v3, v5
	s_addc_u32 s13, s13, 0
	v_mov_b64_e32 v[6:7], s[6:7]
	s_add_u32 s16, s16, 8
	v_cmp_ge_u64_e32 vcc, s[14:15], v[6:7]
	s_addc_u32 s17, s17, 0
	s_cbranch_vccnz .LBB0_9
; %bb.7:                                ;   in Loop: Header=BB0_2 Depth=1
	v_mov_b64_e32 v[6:7], v[8:9]
	s_branch .LBB0_2
.LBB0_8:
	v_mov_b64_e32 v[8:9], v[6:7]
.LBB0_9:
	s_lshl_b64 s[2:3], s[6:7], 3
	s_add_u32 s2, s10, s2
	s_addc_u32 s3, s11, s3
	s_load_dwordx2 s[6:7], s[2:3], 0x0
	s_load_dwordx2 s[10:11], s[0:1], 0x20
	v_and_b32_e32 v1, 1, v1
	v_cmp_eq_u32_e32 vcc, 1, v1
	s_waitcnt lgkmcnt(0)
	v_mul_lo_u32 v4, s6, v9
	v_mul_lo_u32 v5, s7, v8
	v_mad_u64_u32 v[2:3], s[0:1], s6, v8, v[2:3]
	v_add3_u32 v3, v5, v3, v4
	v_mov_b32_e32 v4, 0xf1
	s_mov_b32 s0, 0x5555556
	v_cndmask_b32_e32 v1, 0, v4, vcc
	v_mul_hi_u32 v4, v0, s0
	v_mul_u32_u24_e32 v4, 48, v4
	v_sub_u32_e32 v26, v0, v4
	v_cmp_gt_u64_e32 vcc, s[10:11], v[8:9]
	v_lshl_add_u64 v[24:25], v[2:3], 4, s[8:9]
	v_lshlrev_b32_e32 v55, 4, v1
	v_lshlrev_b32_e32 v53, 4, v26
	s_and_saveexec_b64 s[0:1], vcc
	s_cbranch_execz .LBB0_11
; %bb.10:
	v_mov_b32_e32 v27, 0
	v_lshl_add_u64 v[20:21], v[26:27], 4, v[24:25]
	global_load_dwordx4 v[0:3], v[20:21], off
	global_load_dwordx4 v[4:7], v[20:21], off offset:768
	global_load_dwordx4 v[8:11], v[20:21], off offset:1536
	;; [unrolled: 1-line block ×4, first 2 shown]
	v_add3_u32 v20, 0, v55, v53
	s_waitcnt vmcnt(4)
	ds_write_b128 v20, v[0:3]
	s_waitcnt vmcnt(3)
	ds_write_b128 v20, v[4:7] offset:768
	s_waitcnt vmcnt(2)
	ds_write_b128 v20, v[8:11] offset:1536
	;; [unrolled: 2-line block ×4, first 2 shown]
.LBB0_11:
	s_or_b64 exec, exec, s[0:1]
	v_add_u32_e32 v27, 0, v55
	v_add_u32_e32 v52, v27, v53
	;; [unrolled: 1-line block ×3, first 2 shown]
	s_waitcnt lgkmcnt(0)
	s_barrier
	v_add_u32_e32 v54, v56, v55
	ds_read_b128 v[8:11], v52
	ds_read_b128 v[4:7], v54 offset:480
	ds_read_b128 v[0:3], v54 offset:1920
	;; [unrolled: 1-line block ×7, first 2 shown]
	s_waitcnt lgkmcnt(5)
	v_add_f64 v[28:29], v[8:9], -v[0:1]
	v_add_f64 v[36:37], v[10:11], -v[2:3]
	s_waitcnt lgkmcnt(2)
	v_add_f64 v[30:31], v[16:17], -v[20:21]
	v_add_f64 v[40:41], v[18:19], -v[22:23]
	;; [unrolled: 3-line block ×4, first 2 shown]
	v_add_f64 v[44:45], v[28:29], -v[40:41]
	v_add_f64 v[48:49], v[36:37], v[30:31]
	v_add_f64 v[50:51], v[38:39], -v[34:35]
	v_add_f64 v[46:47], v[32:33], v[42:43]
	s_mov_b32 s6, 0x667f3bcd
	v_fma_f64 v[20:21], v[28:29], 2.0, -v[44:45]
	v_fma_f64 v[22:23], v[36:37], 2.0, -v[48:49]
	;; [unrolled: 1-line block ×4, first 2 shown]
	s_mov_b32 s7, 0xbfe6a09e
	v_fma_f64 v[0:1], s[6:7], v[58:59], v[20:21]
	v_fma_f64 v[2:3], s[6:7], v[60:61], v[22:23]
	s_mov_b32 s9, 0x3fe6a09e
	s_mov_b32 s8, s6
	v_fmac_f64_e32 v[0:1], s[6:7], v[60:61]
	v_fmac_f64_e32 v[2:3], s[8:9], v[58:59]
	v_cmp_gt_u32_e64 s[0:1], 30, v26
	s_barrier
	s_and_saveexec_b64 s[2:3], s[0:1]
	s_cbranch_execz .LBB0_13
; %bb.12:
	v_fma_f64 v[38:39], v[4:5], 2.0, -v[38:39]
	v_fma_f64 v[4:5], v[12:13], 2.0, -v[42:43]
	v_add_f64 v[12:13], v[38:39], -v[4:5]
	v_fma_f64 v[28:29], v[8:9], 2.0, -v[28:29]
	v_fma_f64 v[4:5], v[16:17], 2.0, -v[30:31]
	;; [unrolled: 1-line block ×4, first 2 shown]
	v_add_f64 v[30:31], v[28:29], -v[4:5]
	v_fma_f64 v[32:33], v[6:7], 2.0, -v[32:33]
	v_fma_f64 v[4:5], v[14:15], 2.0, -v[34:35]
	v_add_f64 v[40:41], v[36:37], -v[10:11]
	v_add_f64 v[14:15], v[32:33], -v[4:5]
	;; [unrolled: 1-line block ×3, first 2 shown]
	v_fma_f64 v[4:5], v[20:21], 2.0, -v[0:1]
	v_fma_f64 v[20:21], v[36:37], 2.0, -v[40:41]
	;; [unrolled: 1-line block ×3, first 2 shown]
	v_add_f64 v[14:15], v[20:21], -v[14:15]
	v_add_f64 v[10:11], v[40:41], v[12:13]
	v_fma_f64 v[6:7], v[22:23], 2.0, -v[2:3]
	v_fma_f64 v[22:23], v[20:21], 2.0, -v[14:15]
	;; [unrolled: 1-line block ×4, first 2 shown]
	v_fma_f64 v[60:61], s[8:9], v[46:47], v[48:49]
	v_fma_f64 v[58:59], s[8:9], v[50:51], v[44:45]
	v_add_f64 v[12:13], v[20:21], -v[12:13]
	v_mul_u32_u24_e32 v28, 0x70, v26
	v_fmac_f64_e32 v[60:61], s[8:9], v[50:51]
	v_fmac_f64_e32 v[58:59], s[6:7], v[46:47]
	v_fma_f64 v[20:21], v[20:21], 2.0, -v[12:13]
	v_add3_u32 v28, v56, v28, v55
	v_fma_f64 v[48:49], v[48:49], 2.0, -v[60:61]
	v_fma_f64 v[46:47], v[44:45], 2.0, -v[58:59]
	;; [unrolled: 1-line block ×4, first 2 shown]
	ds_write_b128 v28, v[20:23]
	ds_write_b128 v28, v[4:7] offset:16
	ds_write_b128 v28, v[16:19] offset:32
	;; [unrolled: 1-line block ×7, first 2 shown]
.LBB0_13:
	s_or_b64 exec, exec, s[2:3]
	v_and_b32_e32 v60, 7, v26
	v_lshlrev_b32_e32 v4, 6, v60
	s_waitcnt lgkmcnt(0)
	s_barrier
	global_load_dwordx4 v[8:11], v4, s[4:5]
	global_load_dwordx4 v[12:15], v4, s[4:5] offset:16
	global_load_dwordx4 v[16:19], v4, s[4:5] offset:32
	;; [unrolled: 1-line block ×3, first 2 shown]
	ds_read_b128 v[4:7], v52
	ds_read_b128 v[28:31], v54 offset:768
	ds_read_b128 v[32:35], v54 offset:1536
	;; [unrolled: 1-line block ×4, first 2 shown]
	s_mov_b32 s6, 0x134454ff
	s_mov_b32 s7, 0x3fee6f0e
	;; [unrolled: 1-line block ×10, first 2 shown]
	s_waitcnt lgkmcnt(0)
	s_barrier
	s_waitcnt vmcnt(3)
	v_mul_f64 v[44:45], v[30:31], v[10:11]
	v_mul_f64 v[46:47], v[28:29], v[10:11]
	s_waitcnt vmcnt(2)
	v_mul_f64 v[10:11], v[34:35], v[14:15]
	v_mul_f64 v[48:49], v[32:33], v[14:15]
	s_waitcnt vmcnt(1)
	v_mul_f64 v[14:15], v[38:39], v[18:19]
	v_fma_f64 v[28:29], v[28:29], v[8:9], -v[44:45]
	v_fmac_f64_e32 v[46:47], v[30:31], v[8:9]
	s_waitcnt vmcnt(0)
	v_mul_f64 v[8:9], v[42:43], v[22:23]
	v_mul_f64 v[30:31], v[36:37], v[18:19]
	;; [unrolled: 1-line block ×3, first 2 shown]
	v_fma_f64 v[10:11], v[32:33], v[12:13], -v[10:11]
	v_fmac_f64_e32 v[48:49], v[34:35], v[12:13]
	v_fma_f64 v[12:13], v[36:37], v[16:17], -v[14:15]
	v_fma_f64 v[8:9], v[40:41], v[20:21], -v[8:9]
	v_fmac_f64_e32 v[30:31], v[38:39], v[16:17]
	v_fmac_f64_e32 v[44:45], v[42:43], v[20:21]
	v_add_f64 v[16:17], v[10:11], v[12:13]
	v_add_f64 v[18:19], v[28:29], -v[10:11]
	v_add_f64 v[20:21], v[8:9], -v[12:13]
	v_add_f64 v[22:23], v[28:29], v[8:9]
	v_add_f64 v[40:41], v[6:7], v[46:47]
	v_add_f64 v[42:43], v[48:49], v[30:31]
	v_add_f64 v[58:59], v[18:19], v[20:21]
	v_fma_f64 v[20:21], -0.5, v[16:17], v[4:5]
	v_add_f64 v[16:17], v[46:47], v[44:45]
	v_add_f64 v[14:15], v[4:5], v[28:29]
	v_add_f64 v[50:51], v[10:11], -v[12:13]
	v_fmac_f64_e32 v[4:5], -0.5, v[22:23]
	v_add_f64 v[18:19], v[40:41], v[48:49]
	v_fma_f64 v[22:23], -0.5, v[42:43], v[6:7]
	v_fmac_f64_e32 v[6:7], -0.5, v[16:17]
	v_add_f64 v[36:37], v[10:11], -v[28:29]
	v_add_f64 v[38:39], v[12:13], -v[8:9]
	;; [unrolled: 1-line block ×4, first 2 shown]
	v_add_f64 v[10:11], v[14:15], v[10:11]
	v_add_f64 v[14:15], v[44:45], -v[30:31]
	v_add_f64 v[40:41], v[18:19], v[30:31]
	v_fma_f64 v[18:19], s[6:7], v[50:51], v[6:7]
	v_fmac_f64_e32 v[6:7], s[8:9], v[50:51]
	v_add_f64 v[34:35], v[48:49], -v[30:31]
	v_add_f64 v[36:37], v[36:37], v[38:39]
	v_add_f64 v[38:39], v[56:57], v[14:15]
	v_fma_f64 v[14:15], s[8:9], v[28:29], v[22:23]
	v_fmac_f64_e32 v[22:23], s[6:7], v[28:29]
	v_fmac_f64_e32 v[18:19], s[10:11], v[28:29]
	;; [unrolled: 1-line block ×3, first 2 shown]
	v_lshrrev_b32_e32 v28, 3, v26
	v_add_f64 v[32:33], v[46:47], -v[44:45]
	v_fma_f64 v[16:17], s[8:9], v[34:35], v[4:5]
	v_fmac_f64_e32 v[4:5], s[6:7], v[34:35]
	v_mul_u32_u24_e32 v28, 40, v28
	v_add_f64 v[10:11], v[10:11], v[12:13]
	v_fma_f64 v[12:13], s[6:7], v[32:33], v[20:21]
	v_fmac_f64_e32 v[20:21], s[8:9], v[32:33]
	v_fmac_f64_e32 v[16:17], s[0:1], v[32:33]
	;; [unrolled: 1-line block ×3, first 2 shown]
	v_add_f64 v[32:33], v[48:49], -v[46:47]
	v_add_f64 v[30:31], v[30:31], -v[44:45]
	v_or_b32_e32 v28, v28, v60
	v_fmac_f64_e32 v[12:13], s[0:1], v[34:35]
	v_fmac_f64_e32 v[20:21], s[10:11], v[34:35]
	;; [unrolled: 1-line block ×4, first 2 shown]
	v_add_f64 v[30:31], v[32:33], v[30:31]
	v_lshlrev_b32_e32 v28, 4, v28
	v_add_f64 v[8:9], v[10:11], v[8:9]
	v_add_f64 v[10:11], v[40:41], v[44:45]
	v_fmac_f64_e32 v[12:13], s[2:3], v[58:59]
	v_fmac_f64_e32 v[20:21], s[2:3], v[58:59]
	v_fmac_f64_e32 v[16:17], s[2:3], v[36:37]
	v_fmac_f64_e32 v[4:5], s[2:3], v[36:37]
	v_fmac_f64_e32 v[14:15], s[2:3], v[38:39]
	v_fmac_f64_e32 v[22:23], s[2:3], v[38:39]
	v_fmac_f64_e32 v[18:19], s[2:3], v[30:31]
	v_fmac_f64_e32 v[6:7], s[2:3], v[30:31]
	v_add3_u32 v28, 0, v28, v55
	v_cmp_gt_u32_e64 s[0:1], 40, v26
	ds_write_b128 v28, v[8:11]
	ds_write_b128 v28, v[12:15] offset:128
	ds_write_b128 v28, v[16:19] offset:256
	;; [unrolled: 1-line block ×4, first 2 shown]
	s_waitcnt lgkmcnt(0)
	s_barrier
	s_and_saveexec_b64 s[2:3], s[0:1]
	s_cbranch_execz .LBB0_15
; %bb.14:
	ds_read_b128 v[8:11], v52
	ds_read_b128 v[12:15], v54 offset:640
	ds_read_b128 v[16:19], v54 offset:1280
	;; [unrolled: 1-line block ×5, first 2 shown]
.LBB0_15:
	s_or_b64 exec, exec, s[2:3]
	s_waitcnt lgkmcnt(0)
	s_barrier
	s_and_saveexec_b64 s[2:3], s[0:1]
	s_cbranch_execz .LBB0_17
; %bb.16:
	v_subrev_u32_e32 v28, 40, v26
	v_cndmask_b32_e64 v28, v28, v26, s[0:1]
	v_mul_i32_i24_e32 v28, 5, v28
	v_mov_b32_e32 v29, 0
	v_lshl_add_u64 v[48:49], v[28:29], 4, s[4:5]
	global_load_dwordx4 v[28:31], v[48:49], off offset:528
	global_load_dwordx4 v[32:35], v[48:49], off offset:560
	;; [unrolled: 1-line block ×5, first 2 shown]
	s_mov_b32 s0, 0xe8584caa
	s_mov_b32 s1, 0x3febb67a
	;; [unrolled: 1-line block ×4, first 2 shown]
	s_waitcnt vmcnt(4)
	v_mul_f64 v[48:49], v[18:19], v[30:31]
	s_waitcnt vmcnt(3)
	v_mul_f64 v[50:51], v[22:23], v[34:35]
	v_mul_f64 v[30:31], v[16:17], v[30:31]
	v_mul_f64 v[34:35], v[20:21], v[34:35]
	s_waitcnt vmcnt(1)
	v_mul_f64 v[58:59], v[6:7], v[42:43]
	s_waitcnt vmcnt(0)
	v_mul_f64 v[60:61], v[2:3], v[46:47]
	v_mul_f64 v[42:43], v[4:5], v[42:43]
	;; [unrolled: 1-line block ×5, first 2 shown]
	v_fmac_f64_e32 v[30:31], v[18:19], v[28:29]
	v_fmac_f64_e32 v[34:35], v[22:23], v[32:33]
	v_fma_f64 v[4:5], v[4:5], v[40:41], -v[58:59]
	v_fma_f64 v[0:1], v[0:1], v[44:45], -v[60:61]
	v_fmac_f64_e32 v[42:43], v[6:7], v[40:41]
	v_fmac_f64_e32 v[46:47], v[2:3], v[44:45]
	v_fma_f64 v[16:17], v[16:17], v[28:29], -v[48:49]
	v_fma_f64 v[20:21], v[20:21], v[32:33], -v[50:51]
	;; [unrolled: 1-line block ×3, first 2 shown]
	v_fmac_f64_e32 v[38:39], v[14:15], v[36:37]
	v_add_f64 v[6:7], v[30:31], v[34:35]
	v_add_f64 v[14:15], v[4:5], v[0:1]
	;; [unrolled: 1-line block ×3, first 2 shown]
	v_add_f64 v[2:3], v[16:17], -v[20:21]
	v_add_f64 v[18:19], v[42:43], -v[46:47]
	;; [unrolled: 1-line block ×3, first 2 shown]
	v_add_f64 v[32:33], v[10:11], v[30:31]
	v_add_f64 v[36:37], v[38:39], v[42:43]
	;; [unrolled: 1-line block ×5, first 2 shown]
	v_fma_f64 v[42:43], -0.5, v[6:7], v[10:11]
	v_fma_f64 v[10:11], -0.5, v[14:15], v[12:13]
	;; [unrolled: 1-line block ×3, first 2 shown]
	v_add_f64 v[30:31], v[30:31], -v[34:35]
	v_add_f64 v[6:7], v[32:33], v[34:35]
	v_add_f64 v[14:15], v[36:37], v[46:47]
	v_fma_f64 v[28:29], -0.5, v[40:41], v[8:9]
	v_add_f64 v[8:9], v[16:17], v[20:21]
	v_fma_f64 v[20:21], s[6:7], v[18:19], v[10:11]
	v_fma_f64 v[32:33], s[0:1], v[22:23], v[12:13]
	v_fmac_f64_e32 v[12:13], s[6:7], v[22:23]
	v_fmac_f64_e32 v[10:11], s[0:1], v[18:19]
	v_add_f64 v[4:5], v[4:5], v[0:1]
	v_fma_f64 v[16:17], s[0:1], v[2:3], v[42:43]
	v_fmac_f64_e32 v[42:43], s[6:7], v[2:3]
	v_add_f64 v[2:3], v[6:7], -v[14:15]
	v_fma_f64 v[18:19], s[6:7], v[30:31], v[28:29]
	v_fmac_f64_e32 v[28:29], s[0:1], v[30:31]
	v_add_f64 v[6:7], v[6:7], v[14:15]
	v_mul_f64 v[14:15], v[10:11], s[6:7]
	v_mul_f64 v[30:31], v[12:13], s[0:1]
	v_add_f64 v[0:1], v[8:9], -v[4:5]
	v_add_f64 v[4:5], v[8:9], v[4:5]
	v_mul_f64 v[8:9], v[32:33], -0.5
	v_mul_f64 v[22:23], v[20:21], -0.5
	v_fmac_f64_e32 v[14:15], 0.5, v[12:13]
	v_fmac_f64_e32 v[30:31], 0.5, v[10:11]
	ds_write_b128 v52, v[4:7]
	ds_write_b128 v54, v[0:3] offset:1920
	v_fmac_f64_e32 v[8:9], s[6:7], v[20:21]
	v_fmac_f64_e32 v[22:23], s[0:1], v[32:33]
	v_add_f64 v[6:7], v[42:43], -v[14:15]
	v_add_f64 v[14:15], v[42:43], v[14:15]
	v_add_f64 v[12:13], v[28:29], v[30:31]
	v_add_f64 v[2:3], v[16:17], -v[8:9]
	v_add_f64 v[0:1], v[18:19], -v[22:23]
	;; [unrolled: 1-line block ×3, first 2 shown]
	v_add_f64 v[10:11], v[16:17], v[8:9]
	v_add_f64 v[8:9], v[18:19], v[22:23]
	ds_write_b128 v54, v[12:15] offset:640
	ds_write_b128 v54, v[8:11] offset:1280
	;; [unrolled: 1-line block ×4, first 2 shown]
.LBB0_17:
	s_or_b64 exec, exec, s[2:3]
	s_waitcnt lgkmcnt(0)
	s_barrier
	ds_read_b128 v[4:7], v52
	v_sub_u32_e32 v12, v27, v53
	v_cmp_ne_u32_e64 s[0:1], 0, v26
                                        ; implicit-def: $vgpr2_vgpr3
                                        ; implicit-def: $vgpr10_vgpr11
                                        ; implicit-def: $vgpr8_vgpr9
	s_and_saveexec_b64 s[2:3], s[0:1]
	s_xor_b64 s[0:1], exec, s[2:3]
	s_cbranch_execz .LBB0_19
; %bb.18:
	v_mov_b32_e32 v27, 0
	v_lshl_add_u64 v[0:1], v[26:27], 4, s[4:5]
	global_load_dwordx4 v[0:3], v[0:1], off offset:3712
	ds_read_b128 v[8:11], v12 offset:3840
	s_waitcnt lgkmcnt(0)
	v_add_f64 v[14:15], v[4:5], v[8:9]
	v_add_f64 v[4:5], v[4:5], -v[8:9]
	v_add_f64 v[16:17], v[6:7], v[10:11]
	v_add_f64 v[6:7], v[6:7], -v[10:11]
	v_mul_f64 v[4:5], v[4:5], 0.5
	v_mul_f64 v[8:9], v[16:17], 0.5
	v_mul_f64 v[6:7], v[6:7], 0.5
	s_waitcnt vmcnt(0)
	v_mul_f64 v[16:17], v[4:5], v[2:3]
	v_fma_f64 v[10:11], v[8:9], v[2:3], v[6:7]
	v_fma_f64 v[2:3], v[8:9], v[2:3], -v[6:7]
	v_fma_f64 v[6:7], 0.5, v[14:15], v[16:17]
	v_fma_f64 v[14:15], v[14:15], 0.5, -v[16:17]
	v_fmac_f64_e32 v[6:7], v[8:9], v[0:1]
	v_fma_f64 v[10:11], -v[0:1], v[4:5], v[10:11]
	v_fma_f64 v[2:3], -v[0:1], v[4:5], v[2:3]
	;; [unrolled: 1-line block ×3, first 2 shown]
	ds_write_b64 v52, v[6:7]
	v_mov_b64_e32 v[8:9], v[26:27]
                                        ; implicit-def: $vgpr4_vgpr5
                                        ; implicit-def: $vgpr27
.LBB0_19:
	s_andn2_saveexec_b64 s[0:1], s[0:1]
	s_cbranch_execz .LBB0_21
; %bb.20:
	ds_read_b64 v[2:3], v27 offset:1928
	s_waitcnt lgkmcnt(1)
	v_add_f64 v[10:11], v[4:5], v[6:7]
	ds_write_b64 v52, v[10:11]
	v_mov_b64_e32 v[10:11], 0
	v_add_f64 v[0:1], v[4:5], -v[6:7]
	s_waitcnt lgkmcnt(1)
	v_xor_b32_e32 v3, 0x80000000, v3
	v_mov_b64_e32 v[8:9], 0
	ds_write_b64 v27, v[2:3] offset:1928
	v_mov_b64_e32 v[2:3], v[10:11]
.LBB0_21:
	s_or_b64 exec, exec, s[0:1]
	s_add_u32 s0, s4, 0xe80
	s_addc_u32 s1, s5, 0
	s_waitcnt lgkmcnt(0)
	v_lshl_add_u64 v[4:5], v[8:9], 4, s[0:1]
	global_load_dwordx4 v[14:17], v[4:5], off offset:768
	ds_write_b64 v52, v[10:11] offset:8
	ds_write_b128 v12, v[0:3] offset:3840
	ds_read_b128 v[0:3], v52 offset:768
	ds_read_b128 v[18:21], v12 offset:3072
	v_cmp_gt_u32_e64 s[0:1], 24, v26
	s_waitcnt lgkmcnt(0)
	v_add_f64 v[6:7], v[0:1], v[18:19]
	v_add_f64 v[0:1], v[0:1], -v[18:19]
	v_add_f64 v[10:11], v[2:3], v[20:21]
	v_add_f64 v[2:3], v[2:3], -v[20:21]
	v_mul_f64 v[18:19], v[0:1], 0.5
	v_mul_f64 v[10:11], v[10:11], 0.5
	;; [unrolled: 1-line block ×3, first 2 shown]
	s_waitcnt vmcnt(0)
	v_mul_f64 v[20:21], v[18:19], v[16:17]
	v_fma_f64 v[2:3], v[10:11], v[16:17], v[0:1]
	v_fma_f64 v[16:17], v[10:11], v[16:17], -v[0:1]
	v_fma_f64 v[0:1], 0.5, v[6:7], v[20:21]
	v_fma_f64 v[2:3], -v[14:15], v[18:19], v[2:3]
	v_fma_f64 v[6:7], v[6:7], 0.5, -v[20:21]
	v_fmac_f64_e32 v[0:1], v[10:11], v[14:15]
	v_fma_f64 v[16:17], -v[14:15], v[18:19], v[16:17]
	v_fma_f64 v[14:15], -v[10:11], v[14:15], v[6:7]
	ds_write_b128 v52, v[0:3] offset:768
	ds_write_b128 v12, v[14:17] offset:3072
	s_and_saveexec_b64 s[2:3], s[0:1]
	s_cbranch_execz .LBB0_23
; %bb.22:
	global_load_dwordx4 v[0:3], v[4:5], off offset:1536
	ds_read_b128 v[4:7], v52 offset:1536
	ds_read_b128 v[14:17], v12 offset:2304
	s_waitcnt lgkmcnt(0)
	v_add_f64 v[10:11], v[4:5], v[14:15]
	v_add_f64 v[4:5], v[4:5], -v[14:15]
	v_add_f64 v[18:19], v[6:7], v[16:17]
	v_add_f64 v[6:7], v[6:7], -v[16:17]
	v_mul_f64 v[16:17], v[4:5], 0.5
	v_mul_f64 v[14:15], v[18:19], 0.5
	;; [unrolled: 1-line block ×3, first 2 shown]
	s_waitcnt vmcnt(0)
	v_mul_f64 v[6:7], v[16:17], v[2:3]
	v_fma_f64 v[18:19], v[14:15], v[2:3], v[4:5]
	v_fma_f64 v[20:21], v[14:15], v[2:3], -v[4:5]
	v_fma_f64 v[2:3], 0.5, v[10:11], v[6:7]
	v_fma_f64 v[4:5], -v[0:1], v[16:17], v[18:19]
	v_fma_f64 v[6:7], v[10:11], 0.5, -v[6:7]
	v_fmac_f64_e32 v[2:3], v[14:15], v[0:1]
	v_fma_f64 v[16:17], -v[0:1], v[16:17], v[20:21]
	v_fma_f64 v[14:15], -v[14:15], v[0:1], v[6:7]
	ds_write_b128 v52, v[2:5] offset:1536
	ds_write_b128 v12, v[14:17] offset:2304
.LBB0_23:
	s_or_b64 exec, exec, s[2:3]
	s_waitcnt lgkmcnt(0)
	s_barrier
	s_and_saveexec_b64 s[0:1], vcc
	s_cbranch_execz .LBB0_26
; %bb.24:
	v_lshl_add_u64 v[20:21], v[8:9], 4, v[24:25]
	ds_read_b128 v[0:3], v52
	ds_read_b128 v[4:7], v52 offset:768
	ds_read_b128 v[8:11], v52 offset:1536
	;; [unrolled: 1-line block ×4, first 2 shown]
	v_cmp_eq_u32_e32 vcc, 47, v26
	s_waitcnt lgkmcnt(4)
	global_store_dwordx4 v[20:21], v[0:3], off
	s_waitcnt lgkmcnt(3)
	global_store_dwordx4 v[20:21], v[4:7], off offset:768
	s_waitcnt lgkmcnt(2)
	global_store_dwordx4 v[20:21], v[8:11], off offset:1536
	;; [unrolled: 2-line block ×4, first 2 shown]
	s_and_b64 exec, exec, vcc
	s_cbranch_execz .LBB0_26
; %bb.25:
	ds_read_b128 v[0:3], v52 offset:3088
	s_waitcnt lgkmcnt(0)
	global_store_dwordx4 v[24:25], v[0:3], off offset:3840
.LBB0_26:
	s_endpgm
	.section	.rodata,"a",@progbits
	.p2align	6, 0x0
	.amdhsa_kernel fft_rtc_fwd_len240_factors_8_5_6_wgs_96_tpt_48_halfLds_dp_ip_CI_unitstride_sbrr_R2C_dirReg
		.amdhsa_group_segment_fixed_size 0
		.amdhsa_private_segment_fixed_size 0
		.amdhsa_kernarg_size 88
		.amdhsa_user_sgpr_count 2
		.amdhsa_user_sgpr_dispatch_ptr 0
		.amdhsa_user_sgpr_queue_ptr 0
		.amdhsa_user_sgpr_kernarg_segment_ptr 1
		.amdhsa_user_sgpr_dispatch_id 0
		.amdhsa_user_sgpr_kernarg_preload_length 0
		.amdhsa_user_sgpr_kernarg_preload_offset 0
		.amdhsa_user_sgpr_private_segment_size 0
		.amdhsa_uses_dynamic_stack 0
		.amdhsa_enable_private_segment 0
		.amdhsa_system_sgpr_workgroup_id_x 1
		.amdhsa_system_sgpr_workgroup_id_y 0
		.amdhsa_system_sgpr_workgroup_id_z 0
		.amdhsa_system_sgpr_workgroup_info 0
		.amdhsa_system_vgpr_workitem_id 0
		.amdhsa_next_free_vgpr 62
		.amdhsa_next_free_sgpr 22
		.amdhsa_accum_offset 64
		.amdhsa_reserve_vcc 1
		.amdhsa_float_round_mode_32 0
		.amdhsa_float_round_mode_16_64 0
		.amdhsa_float_denorm_mode_32 3
		.amdhsa_float_denorm_mode_16_64 3
		.amdhsa_dx10_clamp 1
		.amdhsa_ieee_mode 1
		.amdhsa_fp16_overflow 0
		.amdhsa_tg_split 0
		.amdhsa_exception_fp_ieee_invalid_op 0
		.amdhsa_exception_fp_denorm_src 0
		.amdhsa_exception_fp_ieee_div_zero 0
		.amdhsa_exception_fp_ieee_overflow 0
		.amdhsa_exception_fp_ieee_underflow 0
		.amdhsa_exception_fp_ieee_inexact 0
		.amdhsa_exception_int_div_zero 0
	.end_amdhsa_kernel
	.text
.Lfunc_end0:
	.size	fft_rtc_fwd_len240_factors_8_5_6_wgs_96_tpt_48_halfLds_dp_ip_CI_unitstride_sbrr_R2C_dirReg, .Lfunc_end0-fft_rtc_fwd_len240_factors_8_5_6_wgs_96_tpt_48_halfLds_dp_ip_CI_unitstride_sbrr_R2C_dirReg
                                        ; -- End function
	.section	.AMDGPU.csdata,"",@progbits
; Kernel info:
; codeLenInByte = 4312
; NumSgprs: 28
; NumVgprs: 62
; NumAgprs: 0
; TotalNumVgprs: 62
; ScratchSize: 0
; MemoryBound: 0
; FloatMode: 240
; IeeeMode: 1
; LDSByteSize: 0 bytes/workgroup (compile time only)
; SGPRBlocks: 3
; VGPRBlocks: 7
; NumSGPRsForWavesPerEU: 28
; NumVGPRsForWavesPerEU: 62
; AccumOffset: 64
; Occupancy: 8
; WaveLimiterHint : 1
; COMPUTE_PGM_RSRC2:SCRATCH_EN: 0
; COMPUTE_PGM_RSRC2:USER_SGPR: 2
; COMPUTE_PGM_RSRC2:TRAP_HANDLER: 0
; COMPUTE_PGM_RSRC2:TGID_X_EN: 1
; COMPUTE_PGM_RSRC2:TGID_Y_EN: 0
; COMPUTE_PGM_RSRC2:TGID_Z_EN: 0
; COMPUTE_PGM_RSRC2:TIDIG_COMP_CNT: 0
; COMPUTE_PGM_RSRC3_GFX90A:ACCUM_OFFSET: 15
; COMPUTE_PGM_RSRC3_GFX90A:TG_SPLIT: 0
	.text
	.p2alignl 6, 3212836864
	.fill 256, 4, 3212836864
	.type	__hip_cuid_c70b11801ae9ed11,@object ; @__hip_cuid_c70b11801ae9ed11
	.section	.bss,"aw",@nobits
	.globl	__hip_cuid_c70b11801ae9ed11
__hip_cuid_c70b11801ae9ed11:
	.byte	0                               ; 0x0
	.size	__hip_cuid_c70b11801ae9ed11, 1

	.ident	"AMD clang version 19.0.0git (https://github.com/RadeonOpenCompute/llvm-project roc-6.4.0 25133 c7fe45cf4b819c5991fe208aaa96edf142730f1d)"
	.section	".note.GNU-stack","",@progbits
	.addrsig
	.addrsig_sym __hip_cuid_c70b11801ae9ed11
	.amdgpu_metadata
---
amdhsa.kernels:
  - .agpr_count:     0
    .args:
      - .actual_access:  read_only
        .address_space:  global
        .offset:         0
        .size:           8
        .value_kind:     global_buffer
      - .offset:         8
        .size:           8
        .value_kind:     by_value
      - .actual_access:  read_only
        .address_space:  global
        .offset:         16
        .size:           8
        .value_kind:     global_buffer
      - .actual_access:  read_only
        .address_space:  global
        .offset:         24
        .size:           8
        .value_kind:     global_buffer
      - .offset:         32
        .size:           8
        .value_kind:     by_value
      - .actual_access:  read_only
        .address_space:  global
        .offset:         40
        .size:           8
        .value_kind:     global_buffer
      - .actual_access:  read_only
        .address_space:  global
        .offset:         48
        .size:           8
        .value_kind:     global_buffer
      - .offset:         56
        .size:           4
        .value_kind:     by_value
      - .actual_access:  read_only
        .address_space:  global
        .offset:         64
        .size:           8
        .value_kind:     global_buffer
      - .actual_access:  read_only
        .address_space:  global
        .offset:         72
        .size:           8
        .value_kind:     global_buffer
      - .address_space:  global
        .offset:         80
        .size:           8
        .value_kind:     global_buffer
    .group_segment_fixed_size: 0
    .kernarg_segment_align: 8
    .kernarg_segment_size: 88
    .language:       OpenCL C
    .language_version:
      - 2
      - 0
    .max_flat_workgroup_size: 96
    .name:           fft_rtc_fwd_len240_factors_8_5_6_wgs_96_tpt_48_halfLds_dp_ip_CI_unitstride_sbrr_R2C_dirReg
    .private_segment_fixed_size: 0
    .sgpr_count:     28
    .sgpr_spill_count: 0
    .symbol:         fft_rtc_fwd_len240_factors_8_5_6_wgs_96_tpt_48_halfLds_dp_ip_CI_unitstride_sbrr_R2C_dirReg.kd
    .uniform_work_group_size: 1
    .uses_dynamic_stack: false
    .vgpr_count:     62
    .vgpr_spill_count: 0
    .wavefront_size: 64
amdhsa.target:   amdgcn-amd-amdhsa--gfx950
amdhsa.version:
  - 1
  - 2
...

	.end_amdgpu_metadata
